;; amdgpu-corpus repo=ROCm/rocFFT kind=compiled arch=gfx1201 opt=O3
	.text
	.amdgcn_target "amdgcn-amd-amdhsa--gfx1201"
	.amdhsa_code_object_version 6
	.protected	fft_rtc_back_len280_factors_8_5_7_wgs_392_tpt_56_half_ip_CI_sbcc_twdbase8_3step ; -- Begin function fft_rtc_back_len280_factors_8_5_7_wgs_392_tpt_56_half_ip_CI_sbcc_twdbase8_3step
	.globl	fft_rtc_back_len280_factors_8_5_7_wgs_392_tpt_56_half_ip_CI_sbcc_twdbase8_3step
	.p2align	8
	.type	fft_rtc_back_len280_factors_8_5_7_wgs_392_tpt_56_half_ip_CI_sbcc_twdbase8_3step,@function
fft_rtc_back_len280_factors_8_5_7_wgs_392_tpt_56_half_ip_CI_sbcc_twdbase8_3step: ; @fft_rtc_back_len280_factors_8_5_7_wgs_392_tpt_56_half_ip_CI_sbcc_twdbase8_3step
; %bb.0:
	s_load_b128 s[12:15], s[0:1], 0x18
	s_mov_b32 s21, 0
	s_mov_b32 s2, 0x92481000
	s_movk_i32 s3, 0x64
	s_mov_b32 s20, s21
	s_mov_b64 s[26:27], 0
	s_add_nc_u64 s[4:5], s[20:21], s[2:3]
	s_delay_alu instid0(SALU_CYCLE_1) | instskip(NEXT) | instid1(SALU_CYCLE_1)
	s_add_co_i32 s5, s5, 0x249248c0
	s_mul_u64 s[6:7], s[4:5], -7
	s_delay_alu instid0(SALU_CYCLE_1)
	s_mul_hi_u32 s9, s4, s7
	s_mul_i32 s8, s4, s7
	s_mul_hi_u32 s20, s4, s6
	s_mul_i32 s11, s5, s6
	s_add_nc_u64 s[8:9], s[20:21], s[8:9]
	s_mul_hi_u32 s10, s5, s6
	s_mul_hi_u32 s16, s5, s7
	s_mul_i32 s6, s5, s7
	s_wait_kmcnt 0x0
	s_load_b64 s[2:3], s[12:13], 0x8
	s_add_co_u32 s7, s8, s11
	s_add_co_ci_u32 s20, s9, s10
	s_add_co_ci_u32 s7, s16, 0
	s_delay_alu instid0(SALU_CYCLE_1) | instskip(NEXT) | instid1(SALU_CYCLE_1)
	s_add_nc_u64 s[6:7], s[20:21], s[6:7]
	v_add_co_u32 v1, s4, s4, s6
	s_delay_alu instid0(VALU_DEP_1) | instskip(SKIP_1) | instid1(VALU_DEP_1)
	s_cmp_lg_u32 s4, 0
	s_add_co_ci_u32 s8, s5, s7
	v_readfirstlane_b32 s9, v1
	s_wait_kmcnt 0x0
	s_add_nc_u64 s[4:5], s[2:3], -1
	s_wait_alu 0xfffe
	s_mul_hi_u32 s7, s4, s8
	s_mul_i32 s6, s4, s8
	s_mul_hi_u32 s20, s4, s9
	s_mul_hi_u32 s11, s5, s9
	s_mul_i32 s9, s5, s9
	s_wait_alu 0xfffe
	s_add_nc_u64 s[6:7], s[20:21], s[6:7]
	s_mul_hi_u32 s10, s5, s8
	s_wait_alu 0xfffe
	s_add_co_u32 s6, s6, s9
	s_add_co_ci_u32 s20, s7, s11
	s_mul_i32 s8, s5, s8
	s_add_co_ci_u32 s9, s10, 0
	s_delay_alu instid0(SALU_CYCLE_1) | instskip(SKIP_3) | instid1(SALU_CYCLE_1)
	s_add_nc_u64 s[6:7], s[20:21], s[8:9]
	s_mov_b32 s20, ttmp9
	s_wait_alu 0xfffe
	s_mul_u64 s[8:9], s[6:7], 7
	v_sub_co_u32 v1, s4, s4, s8
	s_delay_alu instid0(VALU_DEP_1) | instskip(SKIP_1) | instid1(VALU_DEP_1)
	s_cmp_lg_u32 s4, 0
	s_sub_co_ci_u32 s10, s5, s9
	v_sub_co_u32 v2, s8, v1, 7
	s_delay_alu instid0(VALU_DEP_1) | instskip(SKIP_2) | instid1(VALU_DEP_2)
	s_cmp_lg_u32 s8, 0
	v_readfirstlane_b32 s16, v1
	s_sub_co_ci_u32 s8, s10, 0
	v_readfirstlane_b32 s4, v2
	s_delay_alu instid0(VALU_DEP_1)
	s_cmp_gt_u32 s4, 6
	s_add_nc_u64 s[4:5], s[6:7], 1
	s_cselect_b32 s11, -1, 0
	s_wait_alu 0xfffe
	s_cmp_eq_u32 s8, 0
	s_add_nc_u64 s[8:9], s[6:7], 2
	s_cselect_b32 s11, s11, -1
	s_delay_alu instid0(SALU_CYCLE_1)
	s_cmp_lg_u32 s11, 0
	s_wait_alu 0xfffe
	s_cselect_b32 s4, s8, s4
	s_cselect_b32 s5, s9, s5
	s_cmp_gt_u32 s16, 6
	s_cselect_b32 s8, -1, 0
	s_cmp_eq_u32 s10, 0
	s_wait_alu 0xfffe
	s_cselect_b32 s8, s8, -1
	s_wait_alu 0xfffe
	s_cmp_lg_u32 s8, 0
	s_cselect_b32 s5, s5, s7
	s_cselect_b32 s4, s4, s6
	s_wait_alu 0xfffe
	s_add_nc_u64 s[22:23], s[4:5], 1
	s_delay_alu instid0(SALU_CYCLE_1) | instskip(NEXT) | instid1(VALU_DEP_1)
	v_cmp_lt_u64_e64 s4, s[20:21], s[22:23]
	s_and_b32 vcc_lo, exec_lo, s4
	s_cbranch_vccnz .LBB0_2
; %bb.1:
	v_cvt_f32_u32_e32 v1, s22
	s_sub_co_i32 s5, 0, s22
	s_mov_b32 s27, s21
	s_delay_alu instid0(VALU_DEP_1) | instskip(NEXT) | instid1(TRANS32_DEP_1)
	v_rcp_iflag_f32_e32 v1, v1
	v_mul_f32_e32 v1, 0x4f7ffffe, v1
	s_delay_alu instid0(VALU_DEP_1) | instskip(NEXT) | instid1(VALU_DEP_1)
	v_cvt_u32_f32_e32 v1, v1
	v_readfirstlane_b32 s4, v1
	s_wait_alu 0xfffe
	s_delay_alu instid0(VALU_DEP_1)
	s_mul_i32 s5, s5, s4
	s_wait_alu 0xfffe
	s_mul_hi_u32 s5, s4, s5
	s_wait_alu 0xfffe
	s_add_co_i32 s4, s4, s5
	s_wait_alu 0xfffe
	s_mul_hi_u32 s4, s20, s4
	s_wait_alu 0xfffe
	s_mul_i32 s5, s4, s22
	s_add_co_i32 s6, s4, 1
	s_wait_alu 0xfffe
	s_sub_co_i32 s5, s20, s5
	s_wait_alu 0xfffe
	s_sub_co_i32 s7, s5, s22
	s_cmp_ge_u32 s5, s22
	s_cselect_b32 s4, s6, s4
	s_wait_alu 0xfffe
	s_cselect_b32 s5, s7, s5
	s_add_co_i32 s6, s4, 1
	s_wait_alu 0xfffe
	s_cmp_ge_u32 s5, s22
	s_cselect_b32 s26, s6, s4
.LBB0_2:
	s_load_b128 s[8:11], s[0:1], 0x8
	s_load_b128 s[4:7], s[14:15], 0x0
	s_load_b64 s[16:17], s[0:1], 0x0
	s_mul_u64 s[18:19], s[26:27], s[22:23]
	s_delay_alu instid0(SALU_CYCLE_1) | instskip(NEXT) | instid1(SALU_CYCLE_1)
	s_sub_nc_u64 s[18:19], s[20:21], s[18:19]
	s_mul_u64 s[18:19], s[18:19], 7
	s_wait_kmcnt 0x0
	v_cmp_lt_u64_e64 s24, s[10:11], 3
	s_delay_alu instid0(VALU_DEP_1)
	s_and_b32 vcc_lo, exec_lo, s24
	s_mul_u64 s[24:25], s[6:7], s[18:19]
	s_cbranch_vccnz .LBB0_12
; %bb.3:
	s_add_nc_u64 s[28:29], s[14:15], 16
	s_add_nc_u64 s[12:13], s[12:13], 16
	s_mov_b64 s[30:31], 2
	s_mov_b32 s34, 0
.LBB0_4:                                ; =>This Inner Loop Header: Depth=1
	s_load_b64 s[36:37], s[12:13], 0x0
                                        ; implicit-def: $sgpr40_sgpr41
	s_wait_kmcnt 0x0
	s_or_b64 s[38:39], s[26:27], s[36:37]
	s_delay_alu instid0(SALU_CYCLE_1)
	s_mov_b32 s35, s39
	s_mov_b32 s39, -1
	s_cmp_lg_u64 s[34:35], 0
	s_cbranch_scc0 .LBB0_6
; %bb.5:                                ;   in Loop: Header=BB0_4 Depth=1
	s_cvt_f32_u32 s33, s36
	s_cvt_f32_u32 s35, s37
	s_sub_nc_u64 s[42:43], 0, s[36:37]
	s_mov_b32 s39, 0
	s_mov_b32 s47, s34
	s_wait_alu 0xfffe
	s_fmamk_f32 s33, s35, 0x4f800000, s33
	s_wait_alu 0xfffe
	s_delay_alu instid0(SALU_CYCLE_2) | instskip(NEXT) | instid1(TRANS32_DEP_1)
	v_s_rcp_f32 s33, s33
	s_mul_f32 s33, s33, 0x5f7ffffc
	s_wait_alu 0xfffe
	s_delay_alu instid0(SALU_CYCLE_2) | instskip(NEXT) | instid1(SALU_CYCLE_3)
	s_mul_f32 s35, s33, 0x2f800000
	s_trunc_f32 s35, s35
	s_delay_alu instid0(SALU_CYCLE_3) | instskip(SKIP_2) | instid1(SALU_CYCLE_1)
	s_fmamk_f32 s33, s35, 0xcf800000, s33
	s_cvt_u32_f32 s41, s35
	s_wait_alu 0xfffe
	s_cvt_u32_f32 s40, s33
	s_wait_alu 0xfffe
	s_delay_alu instid0(SALU_CYCLE_2)
	s_mul_u64 s[44:45], s[42:43], s[40:41]
	s_wait_alu 0xfffe
	s_mul_hi_u32 s49, s40, s45
	s_mul_i32 s48, s40, s45
	s_mul_hi_u32 s38, s40, s44
	s_mul_i32 s35, s41, s44
	s_add_nc_u64 s[48:49], s[38:39], s[48:49]
	s_mul_hi_u32 s33, s41, s44
	s_mul_hi_u32 s50, s41, s45
	s_add_co_u32 s35, s48, s35
	s_wait_alu 0xfffe
	s_add_co_ci_u32 s46, s49, s33
	s_mul_i32 s44, s41, s45
	s_add_co_ci_u32 s45, s50, 0
	s_wait_alu 0xfffe
	s_add_nc_u64 s[44:45], s[46:47], s[44:45]
	s_wait_alu 0xfffe
	v_add_co_u32 v1, s33, s40, s44
	s_delay_alu instid0(VALU_DEP_1) | instskip(SKIP_1) | instid1(VALU_DEP_1)
	s_cmp_lg_u32 s33, 0
	s_add_co_ci_u32 s41, s41, s45
	v_readfirstlane_b32 s40, v1
	s_mov_b32 s45, s34
	s_wait_alu 0xfffe
	s_delay_alu instid0(VALU_DEP_1)
	s_mul_u64 s[42:43], s[42:43], s[40:41]
	s_wait_alu 0xfffe
	s_mul_hi_u32 s47, s40, s43
	s_mul_i32 s46, s40, s43
	s_mul_hi_u32 s38, s40, s42
	s_mul_i32 s35, s41, s42
	s_add_nc_u64 s[46:47], s[38:39], s[46:47]
	s_mul_hi_u32 s33, s41, s42
	s_mul_hi_u32 s40, s41, s43
	s_add_co_u32 s35, s46, s35
	s_wait_alu 0xfffe
	s_add_co_ci_u32 s44, s47, s33
	s_mul_i32 s42, s41, s43
	s_add_co_ci_u32 s43, s40, 0
	s_wait_alu 0xfffe
	s_add_nc_u64 s[42:43], s[44:45], s[42:43]
	s_wait_alu 0xfffe
	v_add_co_u32 v1, s33, v1, s42
	s_delay_alu instid0(VALU_DEP_1) | instskip(SKIP_1) | instid1(VALU_DEP_1)
	s_cmp_lg_u32 s33, 0
	s_add_co_ci_u32 s33, s41, s43
	v_readfirstlane_b32 s35, v1
	s_wait_alu 0xfffe
	s_mul_hi_u32 s41, s26, s33
	s_mul_i32 s40, s26, s33
	s_mul_hi_u32 s43, s27, s33
	s_mul_i32 s42, s27, s33
	;; [unrolled: 2-line block ×3, first 2 shown]
	s_wait_alu 0xfffe
	s_add_nc_u64 s[40:41], s[38:39], s[40:41]
	s_mul_hi_u32 s35, s27, s35
	s_wait_alu 0xfffe
	s_add_co_u32 s33, s40, s33
	s_add_co_ci_u32 s44, s41, s35
	s_add_co_ci_u32 s43, s43, 0
	s_wait_alu 0xfffe
	s_add_nc_u64 s[40:41], s[44:45], s[42:43]
	s_wait_alu 0xfffe
	s_mul_u64 s[42:43], s[36:37], s[40:41]
	s_add_nc_u64 s[44:45], s[40:41], 1
	s_wait_alu 0xfffe
	v_sub_co_u32 v1, s33, s26, s42
	s_sub_co_i32 s35, s27, s43
	s_cmp_lg_u32 s33, 0
	s_add_nc_u64 s[46:47], s[40:41], 2
	s_delay_alu instid0(VALU_DEP_1) | instskip(SKIP_2) | instid1(VALU_DEP_1)
	v_sub_co_u32 v2, s38, v1, s36
	s_sub_co_ci_u32 s35, s35, s37
	s_cmp_lg_u32 s38, 0
	v_readfirstlane_b32 s38, v2
	s_sub_co_ci_u32 s35, s35, 0
	s_delay_alu instid0(SALU_CYCLE_1) | instskip(SKIP_1) | instid1(VALU_DEP_1)
	s_cmp_ge_u32 s35, s37
	s_cselect_b32 s42, -1, 0
	s_cmp_ge_u32 s38, s36
	s_cselect_b32 s38, -1, 0
	s_cmp_eq_u32 s35, s37
	s_wait_alu 0xfffe
	s_cselect_b32 s35, s38, s42
	s_delay_alu instid0(SALU_CYCLE_1)
	s_cmp_lg_u32 s35, 0
	s_cselect_b32 s35, s46, s44
	s_cselect_b32 s38, s47, s45
	s_cmp_lg_u32 s33, 0
	v_readfirstlane_b32 s33, v1
	s_sub_co_ci_u32 s42, s27, s43
	s_wait_alu 0xfffe
	s_cmp_ge_u32 s42, s37
	s_cselect_b32 s43, -1, 0
	s_cmp_ge_u32 s33, s36
	s_cselect_b32 s33, -1, 0
	s_cmp_eq_u32 s42, s37
	s_wait_alu 0xfffe
	s_cselect_b32 s33, s33, s43
	s_wait_alu 0xfffe
	s_cmp_lg_u32 s33, 0
	s_cselect_b32 s41, s38, s41
	s_cselect_b32 s40, s35, s40
.LBB0_6:                                ;   in Loop: Header=BB0_4 Depth=1
	s_and_not1_b32 vcc_lo, exec_lo, s39
	s_cbranch_vccnz .LBB0_8
; %bb.7:                                ;   in Loop: Header=BB0_4 Depth=1
	v_cvt_f32_u32_e32 v1, s36
	s_sub_co_i32 s35, 0, s36
	s_mov_b32 s41, s34
	s_delay_alu instid0(VALU_DEP_1) | instskip(NEXT) | instid1(TRANS32_DEP_1)
	v_rcp_iflag_f32_e32 v1, v1
	v_mul_f32_e32 v1, 0x4f7ffffe, v1
	s_delay_alu instid0(VALU_DEP_1) | instskip(NEXT) | instid1(VALU_DEP_1)
	v_cvt_u32_f32_e32 v1, v1
	v_readfirstlane_b32 s33, v1
	s_delay_alu instid0(VALU_DEP_1) | instskip(NEXT) | instid1(SALU_CYCLE_1)
	s_mul_i32 s35, s35, s33
	s_mul_hi_u32 s35, s33, s35
	s_delay_alu instid0(SALU_CYCLE_1)
	s_add_co_i32 s33, s33, s35
	s_wait_alu 0xfffe
	s_mul_hi_u32 s33, s26, s33
	s_wait_alu 0xfffe
	s_mul_i32 s35, s33, s36
	s_add_co_i32 s38, s33, 1
	s_sub_co_i32 s35, s26, s35
	s_delay_alu instid0(SALU_CYCLE_1)
	s_sub_co_i32 s39, s35, s36
	s_cmp_ge_u32 s35, s36
	s_cselect_b32 s33, s38, s33
	s_cselect_b32 s35, s39, s35
	s_wait_alu 0xfffe
	s_add_co_i32 s38, s33, 1
	s_cmp_ge_u32 s35, s36
	s_cselect_b32 s40, s38, s33
.LBB0_8:                                ;   in Loop: Header=BB0_4 Depth=1
	s_load_b64 s[38:39], s[28:29], 0x0
	s_add_nc_u64 s[30:31], s[30:31], 1
	s_mul_u64 s[22:23], s[36:37], s[22:23]
	s_wait_alu 0xfffe
	v_cmp_ge_u64_e64 s33, s[30:31], s[10:11]
	s_mul_u64 s[36:37], s[40:41], s[36:37]
	s_add_nc_u64 s[28:29], s[28:29], 8
	s_wait_alu 0xfffe
	s_sub_nc_u64 s[26:27], s[26:27], s[36:37]
	s_add_nc_u64 s[12:13], s[12:13], 8
	s_and_b32 vcc_lo, exec_lo, s33
	s_wait_kmcnt 0x0
	s_wait_alu 0xfffe
	s_mul_u64 s[26:27], s[38:39], s[26:27]
	s_wait_alu 0xfffe
	s_add_nc_u64 s[24:25], s[26:27], s[24:25]
	s_cbranch_vccnz .LBB0_10
; %bb.9:                                ;   in Loop: Header=BB0_4 Depth=1
	s_mov_b64 s[26:27], s[40:41]
	s_branch .LBB0_4
.LBB0_10:
	v_cmp_lt_u64_e64 s12, s[20:21], s[22:23]
	s_mov_b64 s[26:27], 0
	s_delay_alu instid0(VALU_DEP_1)
	s_and_b32 vcc_lo, exec_lo, s12
	s_cbranch_vccnz .LBB0_12
; %bb.11:
	v_cvt_f32_u32_e32 v1, s22
	s_sub_co_i32 s13, 0, s22
	s_mov_b32 s27, 0
	s_delay_alu instid0(VALU_DEP_1) | instskip(NEXT) | instid1(TRANS32_DEP_1)
	v_rcp_iflag_f32_e32 v1, v1
	v_mul_f32_e32 v1, 0x4f7ffffe, v1
	s_delay_alu instid0(VALU_DEP_1) | instskip(NEXT) | instid1(VALU_DEP_1)
	v_cvt_u32_f32_e32 v1, v1
	v_readfirstlane_b32 s12, v1
	s_delay_alu instid0(VALU_DEP_1) | instskip(NEXT) | instid1(SALU_CYCLE_1)
	s_mul_i32 s13, s13, s12
	s_mul_hi_u32 s13, s12, s13
	s_delay_alu instid0(SALU_CYCLE_1) | instskip(NEXT) | instid1(SALU_CYCLE_1)
	s_add_co_i32 s12, s12, s13
	s_mul_hi_u32 s12, s20, s12
	s_delay_alu instid0(SALU_CYCLE_1) | instskip(NEXT) | instid1(SALU_CYCLE_1)
	s_mul_i32 s13, s12, s22
	s_sub_co_i32 s13, s20, s13
	s_add_co_i32 s20, s12, 1
	s_sub_co_i32 s21, s13, s22
	s_cmp_ge_u32 s13, s22
	s_wait_alu 0xfffe
	s_cselect_b32 s12, s20, s12
	s_cselect_b32 s13, s21, s13
	s_add_co_i32 s20, s12, 1
	s_cmp_ge_u32 s13, s22
	s_wait_alu 0xfffe
	s_cselect_b32 s26, s20, s12
.LBB0_12:
	v_mul_u32_u24_e32 v1, 0x2493, v0
	s_lshl_b64 s[10:11], s[10:11], 3
	s_load_b64 s[0:1], s[0:1], 0x58
	s_add_nc_u64 s[10:11], s[14:15], s[10:11]
	s_add_nc_u64 s[12:13], s[18:19], 7
	v_lshrrev_b32_e32 v10, 16, v1
	s_load_b64 s[10:11], s[10:11], 0x0
	v_cmp_le_u64_e64 s12, s[12:13], s[2:3]
	s_delay_alu instid0(VALU_DEP_2)
	v_mul_lo_u16 v1, v10, 7
	v_lshlrev_b32_e32 v12, 2, v10
	v_add_nc_u32_e32 v9, 56, v10
	v_add_nc_u32_e32 v7, 0x70, v10
	v_add_nc_u32_e32 v8, 0xa8, v10
	v_sub_nc_u16 v1, v0, v1
	v_add_nc_u32_e32 v6, 0xe0, v10
	s_delay_alu instid0(VALU_DEP_2) | instskip(NEXT) | instid1(VALU_DEP_1)
	v_and_b32_e32 v11, 0xffff, v1
	v_add_co_u32 v1, s14, s18, v11
	s_delay_alu instid0(VALU_DEP_1) | instskip(SKIP_3) | instid1(VALU_DEP_2)
	v_add_co_ci_u32_e64 v2, null, s19, 0, s14
	v_mul_u32_u24_e32 v13, 0x460, v11
	s_wait_kmcnt 0x0
	s_mul_u64 s[10:11], s[10:11], s[26:27]
	v_cmp_gt_u64_e32 vcc_lo, s[2:3], v[1:2]
	s_wait_alu 0xfffe
	s_add_nc_u64 s[2:3], s[10:11], s[24:25]
	s_mov_b32 s10, 0
	s_or_b32 s12, s12, vcc_lo
	s_wait_alu 0xfffe
	s_and_saveexec_b32 s11, s12
	s_cbranch_execz .LBB0_14
; %bb.13:
	v_mad_co_u64_u32 v[1:2], null, s6, v11, 0
	v_mad_co_u64_u32 v[3:4], null, s4, v10, 0
	;; [unrolled: 1-line block ×4, first 2 shown]
	s_lshl_b64 s[14:15], s[2:3], 2
	v_mad_co_u64_u32 v[21:22], null, s4, v6, 0
	s_delay_alu instid0(VALU_DEP_4) | instskip(SKIP_4) | instid1(VALU_DEP_3)
	v_mad_co_u64_u32 v[16:17], null, s7, v11, v[2:3]
	v_mad_co_u64_u32 v[17:18], null, s4, v7, 0
	v_mov_b32_e32 v5, v15
	s_wait_alu 0xfffe
	s_add_nc_u64 s[14:15], s[0:1], s[14:15]
	v_mov_b32_e32 v2, v16
	s_delay_alu instid0(VALU_DEP_2) | instskip(NEXT) | instid1(VALU_DEP_4)
	v_mad_co_u64_u32 v[15:16], null, s5, v10, v[4:5]
	v_mov_b32_e32 v4, v18
	v_mad_co_u64_u32 v[23:24], null, s5, v9, v[5:6]
	s_delay_alu instid0(VALU_DEP_4) | instskip(NEXT) | instid1(VALU_DEP_3)
	v_lshlrev_b64_e32 v[1:2], 2, v[1:2]
	v_mad_co_u64_u32 v[24:25], null, s5, v7, v[4:5]
	s_delay_alu instid0(VALU_DEP_3) | instskip(SKIP_1) | instid1(VALU_DEP_3)
	v_dual_mov_b32 v4, v15 :: v_dual_mov_b32 v15, v23
	s_wait_alu 0xfffe
	v_add_co_u32 v25, vcc_lo, s14, v1
	s_delay_alu instid0(VALU_DEP_4) | instskip(NEXT) | instid1(VALU_DEP_3)
	v_add_co_ci_u32_e32 v26, vcc_lo, s15, v2, vcc_lo
	v_lshlrev_b64_e32 v[2:3], 2, v[3:4]
	v_dual_mov_b32 v1, v20 :: v_dual_mov_b32 v18, v24
	v_lshlrev_b64_e32 v[14:15], 2, v[14:15]
	s_delay_alu instid0(VALU_DEP_2)
	v_mad_co_u64_u32 v[4:5], null, s5, v8, v[1:2]
	v_mov_b32_e32 v1, v22
	v_add_co_u32 v2, vcc_lo, v25, v2
	s_wait_alu 0xfffd
	v_add_co_ci_u32_e32 v3, vcc_lo, v26, v3, vcc_lo
	v_lshlrev_b64_e32 v[16:17], 2, v[17:18]
	s_delay_alu instid0(VALU_DEP_3) | instskip(SKIP_4) | instid1(VALU_DEP_3)
	v_mad_co_u64_u32 v[22:23], null, s5, v6, v[1:2]
	v_mov_b32_e32 v20, v4
	v_add_co_u32 v4, vcc_lo, v25, v14
	s_wait_alu 0xfffd
	v_add_co_ci_u32_e32 v5, vcc_lo, v26, v15, vcc_lo
	v_lshlrev_b64_e32 v[14:15], 2, v[19:20]
	v_add_co_u32 v16, vcc_lo, v25, v16
	v_lshlrev_b64_e32 v[18:19], 2, v[21:22]
	s_wait_alu 0xfffd
	v_add_co_ci_u32_e32 v17, vcc_lo, v26, v17, vcc_lo
	s_delay_alu instid0(VALU_DEP_4)
	v_add_co_u32 v14, vcc_lo, v25, v14
	s_wait_alu 0xfffd
	v_add_co_ci_u32_e32 v15, vcc_lo, v26, v15, vcc_lo
	v_add_co_u32 v18, vcc_lo, v25, v18
	s_wait_alu 0xfffd
	v_add_co_ci_u32_e32 v19, vcc_lo, v26, v19, vcc_lo
	s_clause 0x4
	global_load_b32 v1, v[2:3], off
	global_load_b32 v2, v[4:5], off
	global_load_b32 v3, v[16:17], off
	global_load_b32 v4, v[14:15], off
	global_load_b32 v5, v[18:19], off
	v_add3_u32 v14, 0, v13, v12
	s_wait_loadcnt 0x3
	ds_store_2addr_b32 v14, v1, v2 offset1:56
	s_wait_loadcnt 0x1
	ds_store_2addr_b32 v14, v3, v4 offset0:112 offset1:168
	s_wait_loadcnt 0x0
	ds_store_b32 v14, v5 offset:896
.LBB0_14:
	s_wait_alu 0xfffe
	s_or_b32 exec_lo, exec_lo, s11
	s_mov_b32 s14, 0x92481000
	s_movk_i32 s15, 0x64
	s_mov_b32 s11, s10
	v_and_b32_e32 v1, 0xffff, v0
	s_wait_alu 0xfffe
	s_add_nc_u64 s[14:15], s[10:11], s[14:15]
	s_mov_b32 s25, s10
	s_wait_alu 0xfffe
	s_add_co_i32 s15, s15, 0x249248c0
	global_wb scope:SCOPE_SE
	s_wait_dscnt 0x0
	s_wait_alu 0xfffe
	s_mul_u64 s[20:21], s[14:15], -7
	v_mul_u32_u24_e32 v1, 0x493, v1
	s_wait_alu 0xfffe
	s_mul_hi_u32 s23, s14, s21
	s_mul_i32 s22, s14, s21
	s_mul_hi_u32 s24, s14, s20
	s_mul_i32 s13, s15, s20
	s_wait_alu 0xfffe
	s_add_nc_u64 s[22:23], s[24:25], s[22:23]
	s_mul_hi_u32 s11, s15, s20
	s_mul_hi_u32 s24, s15, s21
	s_wait_alu 0xfffe
	s_add_co_u32 s13, s22, s13
	s_add_co_ci_u32 s20, s23, s11
	s_add_co_ci_u32 s23, s24, 0
	s_mul_i32 s22, s15, s21
	s_mov_b32 s21, s10
	v_lshrrev_b32_e32 v5, 16, v1
	s_wait_alu 0xfffe
	s_add_nc_u64 s[10:11], s[20:21], s[22:23]
	s_barrier_signal -1
	s_wait_alu 0xfffe
	v_add_co_u32 v3, s10, s14, s10
	s_delay_alu instid0(VALU_DEP_1) | instskip(SKIP_4) | instid1(VALU_DEP_2)
	s_cmp_lg_u32 s10, 0
	v_add_co_u32 v19, s10, s18, v5
	s_wait_alu 0xf1ff
	v_add_co_ci_u32_e64 v14, null, s19, 0, s10
	s_add_co_ci_u32 s10, s15, s11
	v_mul_hi_u32 v15, v19, v3
	s_wait_alu 0xfffe
	v_mad_co_u64_u32 v[1:2], null, v19, s10, 0
	v_mad_co_u64_u32 v[3:4], null, v14, v3, 0
	v_mul_lo_u16 v5, v5, 56
	s_barrier_wait -1
	global_inv scope:SCOPE_SE
	v_add_co_u32 v15, vcc_lo, v15, v1
	s_wait_alu 0xfffd
	v_add_co_ci_u32_e32 v16, vcc_lo, 0, v2, vcc_lo
	v_mad_co_u64_u32 v[1:2], null, v14, s10, 0
	s_delay_alu instid0(VALU_DEP_3) | instskip(SKIP_1) | instid1(VALU_DEP_3)
	v_add_co_u32 v3, vcc_lo, v15, v3
	s_wait_alu 0xfffd
	v_add_co_ci_u32_e32 v3, vcc_lo, v16, v4, vcc_lo
	v_sub_nc_u16 v28, v0, v5
	s_mov_b32 s10, exec_lo
	s_wait_alu 0xfffd
	s_delay_alu instid0(VALU_DEP_4) | instskip(SKIP_3) | instid1(VALU_DEP_3)
	v_add_co_ci_u32_e32 v2, vcc_lo, 0, v2, vcc_lo
	v_add_co_u32 v1, vcc_lo, v3, v1
	v_and_b32_e32 v25, 0xffff, v28
	s_wait_alu 0xfffd
	v_add_co_ci_u32_e32 v3, vcc_lo, 0, v2, vcc_lo
	s_delay_alu instid0(VALU_DEP_3) | instskip(NEXT) | instid1(VALU_DEP_1)
	v_mad_co_u64_u32 v[1:2], null, v1, 7, 0
	v_mad_co_u64_u32 v[2:3], null, v3, 7, v[2:3]
	s_delay_alu instid0(VALU_DEP_2) | instskip(SKIP_1) | instid1(VALU_DEP_2)
	v_sub_co_u32 v1, vcc_lo, v19, v1
	s_wait_alu 0xfffd
	v_sub_co_ci_u32_e32 v2, vcc_lo, v14, v2, vcc_lo
	s_delay_alu instid0(VALU_DEP_2) | instskip(SKIP_1) | instid1(VALU_DEP_2)
	v_sub_co_u32 v3, vcc_lo, v1, 7
	s_wait_alu 0xfffd
	v_subrev_co_ci_u32_e32 v4, vcc_lo, 0, v2, vcc_lo
	s_delay_alu instid0(VALU_DEP_2)
	v_cmp_lt_u32_e32 vcc_lo, 6, v3
	s_wait_alu 0xfffd
	v_cndmask_b32_e64 v14, 0, -1, vcc_lo
	v_cmp_lt_u32_e32 vcc_lo, 6, v1
	s_wait_alu 0xfffd
	v_cndmask_b32_e64 v15, 0, -1, vcc_lo
	v_cmp_eq_u32_e32 vcc_lo, 0, v4
	s_wait_alu 0xfffd
	v_cndmask_b32_e32 v4, -1, v14, vcc_lo
	v_cmp_eq_u32_e32 vcc_lo, 0, v2
	v_add_nc_u32_e32 v14, -7, v3
	s_wait_alu 0xfffd
	v_cndmask_b32_e32 v0, -1, v15, vcc_lo
	v_cmp_ne_u32_e32 vcc_lo, 0, v4
	s_wait_alu 0xfffd
	v_cndmask_b32_e32 v2, v3, v14, vcc_lo
	s_delay_alu instid0(VALU_DEP_3) | instskip(SKIP_1) | instid1(VALU_DEP_2)
	v_cmp_ne_u32_e32 vcc_lo, 0, v0
	s_wait_alu 0xfffd
	v_dual_cndmask_b32 v0, v1, v2 :: v_dual_lshlrev_b32 v1, 2, v25
	s_delay_alu instid0(VALU_DEP_1) | instskip(NEXT) | instid1(VALU_DEP_2)
	v_mul_u32_u24_e32 v0, 0x118, v0
	v_add_nc_u32_e32 v2, 0, v1
	s_delay_alu instid0(VALU_DEP_2) | instskip(NEXT) | instid1(VALU_DEP_1)
	v_lshlrev_b32_e32 v3, 2, v0
	v_add_nc_u32_e32 v14, v2, v3
	v_add3_u32 v15, 0, v3, v1
	ds_load_2addr_b32 v[0:1], v14 offset0:35 offset1:70
	ds_load_2addr_b32 v[4:5], v14 offset0:105 offset1:140
	ds_load_b32 v18, v15
	ds_load_2addr_b32 v[16:17], v14 offset0:175 offset1:210
	ds_load_b32 v20, v14 offset:980
	global_wb scope:SCOPE_SE
	s_wait_dscnt 0x0
	s_barrier_signal -1
	s_barrier_wait -1
	global_inv scope:SCOPE_SE
	v_pk_add_f16 v22, v18, v5 neg_lo:[0,1] neg_hi:[0,1]
	v_pk_add_f16 v21, v1, v17 neg_lo:[0,1] neg_hi:[0,1]
	;; [unrolled: 1-line block ×4, first 2 shown]
	s_delay_alu instid0(VALU_DEP_4) | instskip(NEXT) | instid1(VALU_DEP_4)
	v_lshrrev_b32_e32 v24, 16, v22
	v_alignbit_b32 v17, s0, v21, 16
	s_delay_alu instid0(VALU_DEP_4) | instskip(NEXT) | instid1(VALU_DEP_4)
	v_lshrrev_b32_e32 v27, 16, v16
	v_lshrrev_b32_e32 v26, 16, v20
	v_pk_fma_f16 v5, v18, 2.0, v22 op_sel_hi:[1,0,1] neg_lo:[0,0,1] neg_hi:[0,0,1]
	v_pk_fma_f16 v1, v1, 2.0, v21 op_sel_hi:[1,0,1] neg_lo:[0,0,1] neg_hi:[0,0,1]
	v_pk_add_f16 v17, v22, v17
	v_sub_f16_e32 v18, v24, v21
	v_add_f16_e32 v26, v16, v26
	v_sub_f16_e32 v21, v27, v20
	v_pk_fma_f16 v23, v0, 2.0, v16 op_sel_hi:[1,0,1] neg_lo:[0,0,1] neg_hi:[0,0,1]
	v_pk_fma_f16 v0, v4, 2.0, v20 op_sel_hi:[1,0,1] neg_lo:[0,0,1] neg_hi:[0,0,1]
	v_fma_f16 v20, v22, 2.0, -v17
	v_fma_f16 v24, v24, 2.0, -v18
	;; [unrolled: 1-line block ×4, first 2 shown]
	v_pk_add_f16 v22, v5, v1 neg_lo:[0,1] neg_hi:[0,1]
	v_pk_add_f16 v27, v23, v0 neg_lo:[0,1] neg_hi:[0,1]
	s_delay_alu instid0(VALU_DEP_4) | instskip(NEXT) | instid1(VALU_DEP_4)
	v_fmamk_f16 v0, v29, 0xb9a8, v20
	v_fmamk_f16 v16, v30, 0xb9a8, v24
	s_delay_alu instid0(VALU_DEP_3) | instskip(SKIP_1) | instid1(VALU_DEP_4)
	v_pk_add_f16 v1, v22, v27 op_sel:[0,1] op_sel_hi:[1,0]
	v_pk_add_f16 v4, v22, v27 op_sel:[0,1] op_sel_hi:[1,0] neg_lo:[0,1] neg_hi:[0,1]
	v_fmac_f16_e32 v0, 0x39a8, v30
	s_delay_alu instid0(VALU_DEP_4)
	v_fmac_f16_e32 v16, 0xb9a8, v29
	v_cmpx_gt_u16_e32 35, v28
	s_cbranch_execz .LBB0_16
; %bb.15:
	v_fmamk_f16 v28, v21, 0x39a8, v18
	v_fmamk_f16 v29, v26, 0x39a8, v17
	v_pk_fma_f16 v5, v5, 2.0, v22 op_sel_hi:[1,0,1] neg_lo:[0,0,1] neg_hi:[0,0,1]
	v_pk_fma_f16 v23, v23, 2.0, v27 op_sel_hi:[1,0,1] neg_lo:[0,0,1] neg_hi:[0,0,1]
	v_mul_u32_u24_e32 v30, 28, v25
	v_fmac_f16_e32 v28, 0xb9a8, v26
	v_fmac_f16_e32 v29, 0x39a8, v21
	v_perm_b32 v24, v22, v24, 0x5040100
	v_pk_add_f16 v31, v5, v23 neg_lo:[0,1] neg_hi:[0,1]
	v_perm_b32 v26, v1, v16, 0x5040100
	v_fma_f16 v18, v18, 2.0, -v28
	v_alignbit_b32 v17, v17, v22, 16
	v_alignbit_b32 v27, v29, v4, 16
	v_add3_u32 v2, v2, v30, v3
	v_pk_fma_f16 v5, v5, 2.0, v31 op_sel_hi:[1,0,1] neg_lo:[0,0,1] neg_hi:[0,0,1]
	v_fma_f16 v29, v20, 2.0, -v0
	v_pk_fma_f16 v20, v24, 2.0, v26 op_sel_hi:[1,0,1] neg_lo:[0,0,1] neg_hi:[0,0,1]
	v_pk_fma_f16 v21, v17, 2.0, v27 op_sel_hi:[1,0,1] neg_lo:[0,0,1] neg_hi:[0,0,1]
	v_alignbit_b32 v23, v0, v31, 16
	v_pack_b32_f16 v22, v18, v31
	ds_store_b32 v2, v5
	ds_store_b16 v2, v29 offset:4
	ds_store_b128 v2, v[20:23] offset:6
	ds_store_b64 v2, v[26:27] offset:22
	ds_store_b16 v2, v28 offset:30
.LBB0_16:
	s_wait_alu 0xfffe
	s_or_b32 exec_lo, exec_lo, s10
	v_and_b32_e32 v5, 7, v25
	global_wb scope:SCOPE_SE
	s_wait_dscnt 0x0
	s_barrier_signal -1
	s_barrier_wait -1
	global_inv scope:SCOPE_SE
	v_lshlrev_b32_e32 v2, 4, v5
	v_lshrrev_b32_e32 v20, 16, v4
	v_cmp_gt_u16_e32 vcc_lo, 40, v25
	global_load_b128 v[21:24], v2, s[16:17]
	ds_load_2addr_b32 v[26:27], v14 offset0:56 offset1:112
	ds_load_2addr_b32 v[28:29], v14 offset0:168 offset1:224
	v_lshrrev_b32_e32 v2, 3, v25
	s_delay_alu instid0(VALU_DEP_1)
	v_mul_u32_u24_e32 v18, 40, v2
	ds_load_b32 v2, v15
	ds_load_u16 v17, v15 offset:2
	global_wb scope:SCOPE_SE
	s_wait_loadcnt_dscnt 0x0
	s_barrier_signal -1
	s_barrier_wait -1
	v_or_b32_e32 v5, v18, v5
	global_inv scope:SCOPE_SE
	v_lshlrev_b32_e32 v4, 2, v5
	v_lshrrev_b32_e32 v5, 16, v26
	v_lshrrev_b32_e32 v18, 16, v27
	;; [unrolled: 1-line block ×4, first 2 shown]
	v_add3_u32 v33, 0, v4, v3
	v_lshrrev_b32_e32 v32, 16, v21
	v_lshrrev_b32_e32 v3, 16, v22
	;; [unrolled: 1-line block ×4, first 2 shown]
	s_delay_alu instid0(VALU_DEP_4)
	v_mul_f16_e32 v35, v32, v5
	v_mul_f16_e32 v32, v32, v26
	;; [unrolled: 1-line block ×8, first 2 shown]
	v_fmac_f16_e32 v35, v21, v26
	v_fma_f16 v5, v21, v5, -v32
	v_fmac_f16_e32 v36, v22, v27
	v_fma_f16 v18, v22, v18, -v3
	;; [unrolled: 2-line block ×4, first 2 shown]
	v_add_f16_e32 v3, v35, v2
	v_add_f16_e32 v4, v36, v37
	v_sub_f16_e32 v22, v35, v36
	v_sub_f16_e32 v24, v38, v37
	v_add_f16_e32 v31, v17, v5
	v_add_f16_e32 v32, v18, v23
	;; [unrolled: 1-line block ×4, first 2 shown]
	v_sub_f16_e32 v26, v5, v21
	v_sub_f16_e32 v27, v18, v23
	;; [unrolled: 1-line block ×7, first 2 shown]
	v_add_f16_e32 v36, v3, v36
	v_fma_f16 v3, -0.5, v4, v2
	v_add_f16_e32 v43, v22, v24
	v_add_f16_e32 v18, v31, v18
	v_fma_f16 v22, -0.5, v32, v17
	v_sub_f16_e32 v30, v37, v38
	v_sub_f16_e32 v42, v23, v21
	v_fmac_f16_e32 v2, -0.5, v28
	v_fmac_f16_e32 v17, -0.5, v41
	v_sub_f16_e32 v40, v21, v23
	v_fmamk_f16 v4, v26, 0xbb9c, v3
	v_add_f16_e32 v32, v18, v23
	v_fmamk_f16 v23, v34, 0x3b9c, v22
	v_add_f16_e32 v28, v29, v30
	v_add_f16_e32 v30, v5, v42
	v_fmamk_f16 v5, v27, 0x3b9c, v2
	v_fmac_f16_e32 v2, 0xbb9c, v27
	v_fmamk_f16 v24, v35, 0xbb9c, v17
	v_fmac_f16_e32 v17, 0x3b9c, v35
	v_fmac_f16_e32 v3, 0x3b9c, v26
	;; [unrolled: 1-line block ×3, first 2 shown]
	v_add_f16_e32 v29, v39, v40
	v_add_f16_e32 v31, v36, v37
	v_fmac_f16_e32 v4, 0xb8b4, v27
	v_fmac_f16_e32 v23, 0x38b4, v35
	;; [unrolled: 1-line block ×8, first 2 shown]
	v_add_f16_e32 v18, v31, v38
	v_add_f16_e32 v21, v32, v21
	v_fmac_f16_e32 v4, 0x34f2, v43
	v_fmac_f16_e32 v23, 0x34f2, v29
	;; [unrolled: 1-line block ×8, first 2 shown]
	v_pack_b32_f16 v26, v18, v21
	v_pack_b32_f16 v27, v4, v23
	;; [unrolled: 1-line block ×5, first 2 shown]
	ds_store_2addr_b32 v33, v26, v27 offset1:8
	ds_store_2addr_b32 v33, v28, v29 offset0:16 offset1:24
	ds_store_b32 v33, v30 offset:128
	global_wb scope:SCOPE_SE
	s_wait_dscnt 0x0
	s_barrier_signal -1
	s_barrier_wait -1
	global_inv scope:SCOPE_SE
	s_and_saveexec_b32 s10, vcc_lo
	s_cbranch_execz .LBB0_18
; %bb.17:
	ds_load_b32 v18, v15
	ds_load_2addr_b32 v[4:5], v14 offset0:40 offset1:80
	ds_load_2addr_b32 v[2:3], v14 offset0:120 offset1:160
	ds_load_2addr_b32 v[0:1], v14 offset0:200 offset1:240
	s_wait_dscnt 0x3
	v_lshrrev_b32_e32 v21, 16, v18
	s_wait_dscnt 0x2
	v_lshrrev_b32_e32 v23, 16, v4
	v_lshrrev_b32_e32 v24, 16, v5
	s_wait_dscnt 0x1
	v_lshrrev_b32_e32 v17, 16, v2
	;; [unrolled: 3-line block ×3, first 2 shown]
	v_lshrrev_b32_e32 v20, 16, v1
.LBB0_18:
	s_wait_alu 0xfffe
	s_or_b32 exec_lo, exec_lo, s10
	v_subrev_nc_u32_e32 v26, 40, v25
	s_delay_alu instid0(VALU_DEP_1) | instskip(NEXT) | instid1(VALU_DEP_1)
	v_cndmask_b32_e32 v45, v26, v25, vcc_lo
	v_add_nc_u32_e32 v26, 40, v45
	v_add_nc_u32_e32 v28, 0x78, v45
	s_delay_alu instid0(VALU_DEP_2) | instskip(NEXT) | instid1(VALU_DEP_2)
	v_mul_lo_u32 v26, v19, v26
	v_mul_lo_u32 v35, v19, v28
	s_delay_alu instid0(VALU_DEP_2)
	v_and_b32_e32 v28, 0xff, v26
	v_mul_lo_u32 v25, v19, v45
	v_add_nc_u32_e32 v27, 0x50, v45
	v_add_nc_u32_e32 v33, 0xa0, v45
	v_and_b32_e32 v37, 0xff, v35
	v_lshlrev_b32_e32 v36, 2, v28
	v_lshrrev_b32_e32 v38, 6, v35
	v_mul_lo_u32 v34, v19, v27
	v_mul_lo_u32 v33, v19, v33
	v_and_b32_e32 v29, 0xff, v25
	v_lshrrev_b32_e32 v30, 6, v25
	v_lshrrev_b32_e32 v25, 14, v25
	v_add_nc_u32_e32 v41, 0xf0, v45
	v_lshrrev_b32_e32 v35, 14, v35
	v_lshlrev_b32_e32 v27, 2, v29
	v_and_b32_e32 v29, 0x3fc, v30
	v_lshrrev_b32_e32 v30, 6, v26
	v_lshrrev_b32_e32 v26, 14, v26
	v_and_b32_e32 v31, 0xff, v34
	v_lshrrev_b32_e32 v32, 6, v34
	v_and_b32_e32 v25, 0x3fc, v25
	v_and_b32_e32 v30, 0x3fc, v30
	;; [unrolled: 1-line block ×3, first 2 shown]
	v_lshlrev_b32_e32 v31, 2, v31
	v_and_b32_e32 v32, 0x3fc, v32
	s_clause 0x7
	global_load_b32 v28, v27, s[8:9]
	global_load_b32 v27, v29, s[8:9] offset:1024
	global_load_b32 v25, v25, s[8:9] offset:2048
	global_load_b32 v29, v36, s[8:9]
	global_load_b32 v30, v30, s[8:9] offset:1024
	global_load_b32 v26, v26, s[8:9] offset:2048
	global_load_b32 v31, v31, s[8:9]
	global_load_b32 v32, v32, s[8:9] offset:1024
	v_add_nc_u32_e32 v36, 0xc8, v45
	v_lshrrev_b32_e32 v34, 14, v34
	v_mul_lo_u32 v47, v19, v41
	v_lshrrev_b32_e32 v39, 6, v33
	v_and_b32_e32 v35, 0x3fc, v35
	v_mul_lo_u32 v42, v19, v36
	v_lshlrev_b32_e32 v36, 2, v37
	v_and_b32_e32 v37, 0x3fc, v38
	v_and_b32_e32 v38, 0xff, v33
	;; [unrolled: 1-line block ×3, first 2 shown]
	v_lshrrev_b32_e32 v33, 14, v33
	v_and_b32_e32 v43, 0x3fc, v39
	v_and_b32_e32 v40, 0xff, v42
	v_lshlrev_b32_e32 v38, 2, v38
	s_delay_alu instid0(VALU_DEP_4) | instskip(NEXT) | instid1(VALU_DEP_3)
	v_and_b32_e32 v44, 0x3fc, v33
	v_lshlrev_b32_e32 v46, 2, v40
	s_clause 0x7
	global_load_b32 v19, v34, s[8:9] offset:2048
	global_load_b32 v36, v36, s[8:9]
	global_load_b32 v37, v37, s[8:9] offset:1024
	global_load_b32 v33, v35, s[8:9] offset:2048
	global_load_b32 v39, v38, s[8:9]
	global_load_b32 v40, v43, s[8:9] offset:1024
	global_load_b32 v34, v44, s[8:9] offset:2048
	global_load_b32 v41, v46, s[8:9]
	v_lshrrev_b32_e32 v35, 6, v42
	v_lshrrev_b32_e32 v38, 14, v42
	v_and_b32_e32 v42, 0xff, v47
	v_lshrrev_b32_e32 v43, 6, v47
	v_lshrrev_b32_e32 v44, 14, v47
	v_and_b32_e32 v35, 0x3fc, v35
	v_and_b32_e32 v38, 0x3fc, v38
	v_lshlrev_b32_e32 v46, 2, v42
	v_and_b32_e32 v47, 0x3fc, v43
	v_and_b32_e32 v48, 0x3fc, v44
	s_clause 0x4
	global_load_b32 v42, v35, s[8:9] offset:1024
	global_load_b32 v35, v38, s[8:9] offset:2048
	global_load_b32 v43, v46, s[8:9]
	global_load_b32 v44, v47, s[8:9] offset:1024
	global_load_b32 v38, v48, s[8:9] offset:2048
	global_wb scope:SCOPE_SE
	s_wait_loadcnt 0x0
	s_barrier_signal -1
	s_barrier_wait -1
	global_inv scope:SCOPE_SE
	s_and_saveexec_b32 s8, vcc_lo
	s_cbranch_execz .LBB0_20
; %bb.19:
	v_mul_i32_i24_e32 v45, 6, v45
	v_mov_b32_e32 v46, 0
	v_lshrrev_b32_e32 v51, 16, v28
	v_lshrrev_b32_e32 v52, 16, v27
	;; [unrolled: 1-line block ×4, first 2 shown]
	v_lshlrev_b64_e32 v[45:46], 2, v[45:46]
	v_lshrrev_b32_e32 v57, 16, v31
	v_lshrrev_b32_e32 v58, 16, v32
	;; [unrolled: 1-line block ×5, first 2 shown]
	v_add_co_u32 v49, vcc_lo, s16, v45
	s_wait_alu 0xfffd
	v_add_co_ci_u32_e32 v50, vcc_lo, s17, v46, vcc_lo
	v_lshrrev_b32_e32 v61, 16, v37
	v_lshrrev_b32_e32 v63, 16, v39
	s_clause 0x1
	global_load_b128 v[45:48], v[49:50], off offset:128
	global_load_b64 v[49:50], v[49:50], off offset:144
	v_lshrrev_b32_e32 v64, 16, v40
	v_lshrrev_b32_e32 v68, 16, v41
	;; [unrolled: 1-line block ×3, first 2 shown]
	v_mul_f16_e32 v72, v66, v67
	v_mul_f16_e32 v67, v43, v67
	;; [unrolled: 1-line block ×8, first 2 shown]
	v_lshrrev_b32_e32 v53, 16, v25
	v_lshrrev_b32_e32 v56, 16, v26
	;; [unrolled: 1-line block ×4, first 2 shown]
	v_mul_f16_e32 v73, v68, v69
	v_mul_f16_e32 v69, v41, v69
	;; [unrolled: 1-line block ×6, first 2 shown]
	v_fma_f16 v43, v43, v44, -v72
	v_fmac_f16_e32 v67, v66, v44
	v_fma_f16 v31, v31, v32, -v76
	v_fmac_f16_e32 v58, v57, v32
	;; [unrolled: 2-line block ×4, first 2 shown]
	v_lshrrev_b32_e32 v62, 16, v33
	v_lshrrev_b32_e32 v65, 16, v34
	;; [unrolled: 1-line block ×3, first 2 shown]
	v_fma_f16 v41, v41, v42, -v73
	v_fmac_f16_e32 v69, v68, v42
	v_fma_f16 v39, v39, v40, -v74
	v_fmac_f16_e32 v64, v63, v40
	;; [unrolled: 2-line block ×3, first 2 shown]
	v_mul_f16_e32 v27, v67, v71
	v_mul_f16_e32 v30, v43, v71
	;; [unrolled: 1-line block ×14, first 2 shown]
	v_fma_f16 v27, v38, v43, -v27
	v_fmac_f16_e32 v30, v38, v67
	v_fma_f16 v31, v19, v31, -v54
	v_fmac_f16_e32 v57, v19, v58
	;; [unrolled: 2-line block ×7, first 2 shown]
	s_wait_loadcnt 0x1
	v_lshrrev_b32_e32 v25, 16, v45
	v_lshrrev_b32_e32 v28, 16, v46
	s_wait_loadcnt 0x0
	v_lshrrev_b32_e32 v29, 16, v50
	v_lshrrev_b32_e32 v38, 16, v49
	;; [unrolled: 1-line block ×4, first 2 shown]
	v_mul_f16_e32 v39, v23, v25
	v_mul_f16_e32 v40, v20, v29
	;; [unrolled: 1-line block ×12, first 2 shown]
	v_fmac_f16_e32 v39, v4, v45
	v_fmac_f16_e32 v40, v1, v50
	v_fmac_f16_e32 v44, v5, v46
	v_fmac_f16_e32 v52, v0, v49
	v_fma_f16 v0, v20, v50, -v29
	v_fma_f16 v1, v23, v45, -v25
	;; [unrolled: 1-line block ×4, first 2 shown]
	v_fmac_f16_e32 v41, v3, v48
	v_fmac_f16_e32 v43, v2, v47
	v_fma_f16 v2, v17, v47, -v36
	v_fma_f16 v3, v22, v48, -v33
	v_add_f16_e32 v22, v1, v0
	v_add_f16_e32 v24, v5, v4
	;; [unrolled: 1-line block ×4, first 2 shown]
	v_sub_f16_e32 v16, v39, v40
	v_sub_f16_e32 v17, v41, v43
	;; [unrolled: 1-line block ×3, first 2 shown]
	v_add_f16_e32 v23, v2, v3
	v_add_f16_e32 v28, v43, v41
	v_sub_f16_e32 v0, v1, v0
	v_sub_f16_e32 v1, v3, v2
	;; [unrolled: 1-line block ×3, first 2 shown]
	v_add_f16_e32 v36, v24, v22
	v_add_f16_e32 v40, v29, v25
	v_sub_f16_e32 v3, v16, v17
	v_sub_f16_e32 v4, v17, v20
	v_add_f16_e32 v5, v17, v20
	v_sub_f16_e32 v17, v22, v23
	v_sub_f16_e32 v33, v23, v24
	v_sub_f16_e32 v38, v25, v28
	v_sub_f16_e32 v39, v28, v29
	v_sub_f16_e32 v41, v0, v1
	v_sub_f16_e32 v43, v1, v2
	v_add_f16_e32 v1, v1, v2
	v_sub_f16_e32 v20, v20, v16
	v_sub_f16_e32 v2, v2, v0
	v_add_f16_e32 v23, v23, v36
	v_add_f16_e32 v28, v28, v40
	v_sub_f16_e32 v22, v24, v22
	v_sub_f16_e32 v24, v29, v25
	v_mul_f16_e32 v4, 0x3846, v4
	v_add_f16_e32 v5, v5, v16
	v_mul_f16_e32 v16, 0x3a52, v17
	v_mul_f16_e32 v17, 0x2b26, v33
	;; [unrolled: 1-line block ×4, first 2 shown]
	v_add_f16_e32 v0, v1, v0
	v_mul_f16_e32 v1, 0xbb00, v20
	v_mul_f16_e32 v38, 0xbb00, v2
	v_add_f16_e32 v21, v21, v23
	v_add_f16_e32 v18, v18, v28
	v_mul_f16_e32 v29, 0x2b26, v39
	v_fmamk_f16 v40, v3, 0xb574, v4
	v_fmamk_f16 v33, v33, 0x2b26, v16
	;; [unrolled: 1-line block ×4, first 2 shown]
	v_fma_f16 v1, v3, 0x3574, -v1
	v_fma_f16 v3, v22, 0xb9e0, -v16
	;; [unrolled: 1-line block ×7, first 2 shown]
	v_fmamk_f16 v22, v23, 0xbcab, v21
	v_fmamk_f16 v23, v28, 0xbcab, v18
	v_fma_f16 v20, v24, 0x39e0, -v29
	v_fmac_f16_e32 v40, 0xb70e, v5
	v_fmac_f16_e32 v43, 0xb70e, v0
	v_fmac_f16_e32 v1, 0xb70e, v5
	v_fmac_f16_e32 v25, 0xb70e, v0
	v_fmac_f16_e32 v4, 0xb70e, v5
	v_fmac_f16_e32 v2, 0xb70e, v0
	v_mul_f16_e32 v0, v18, v53
	v_mul_f16_e32 v5, v21, v53
	v_add_f16_e32 v24, v33, v22
	v_add_f16_e32 v28, v39, v23
	;; [unrolled: 1-line block ×6, first 2 shown]
	v_fma_f16 v0, v21, v26, -v0
	v_fmac_f16_e32 v5, v18, v26
	v_add_f16_e32 v22, v1, v3
	v_sub_f16_e32 v23, v16, v25
	v_sub_f16_e32 v26, v17, v4
	v_add_f16_e32 v4, v4, v17
	v_sub_f16_e32 v1, v3, v1
	v_add_f16_e32 v3, v25, v16
	;; [unrolled: 2-line block ×3, first 2 shown]
	v_add_f16_e32 v18, v40, v24
	v_sub_f16_e32 v21, v28, v43
	v_add_f16_e32 v29, v2, v20
	v_sub_f16_e32 v2, v20, v2
	v_mul_f16_e32 v24, v23, v37
	v_mul_f16_e32 v25, v22, v37
	;; [unrolled: 1-line block ×6, first 2 shown]
	v_pack_b32_f16 v0, v5, v0
	v_mul_f16_e32 v5, v21, v30
	v_mul_f16_e32 v20, v18, v30
	;; [unrolled: 1-line block ×6, first 2 shown]
	v_fma_f16 v1, v1, v31, -v37
	v_fma_f16 v16, v16, v19, -v39
	v_fmac_f16_e32 v40, v17, v19
	v_fmac_f16_e32 v38, v3, v31
	;; [unrolled: 1-line block ×3, first 2 shown]
	v_fma_f16 v21, v26, v35, -v28
	v_fma_f16 v4, v4, v34, -v33
	v_fmac_f16_e32 v36, v2, v34
	v_fmac_f16_e32 v30, v29, v35
	v_fma_f16 v5, v18, v27, -v5
	v_fma_f16 v18, v22, v32, -v24
	v_fmac_f16_e32 v25, v23, v32
	v_pack_b32_f16 v2, v40, v16
	v_pack_b32_f16 v1, v38, v1
	;; [unrolled: 1-line block ×6, first 2 shown]
	ds_store_b32 v15, v0
	ds_store_2addr_b32 v14, v2, v1 offset0:40 offset1:80
	ds_store_2addr_b32 v14, v3, v4 offset0:120 offset1:160
	;; [unrolled: 1-line block ×3, first 2 shown]
.LBB0_20:
	s_wait_alu 0xfffe
	s_or_b32 exec_lo, exec_lo, s8
	global_wb scope:SCOPE_SE
	s_wait_dscnt 0x0
	s_barrier_signal -1
	s_barrier_wait -1
	global_inv scope:SCOPE_SE
	s_and_saveexec_b32 s8, s12
	s_cbranch_execz .LBB0_22
; %bb.21:
	v_mad_co_u64_u32 v[0:1], null, s6, v11, 0
	v_mad_co_u64_u32 v[2:3], null, s4, v10, 0
	v_add3_u32 v19, 0, v13, v12
	s_lshl_b64 s[2:3], s[2:3], 2
	v_mad_co_u64_u32 v[16:17], null, s4, v8, 0
	s_wait_alu 0xfffe
	s_add_nc_u64 s[0:1], s[0:1], s[2:3]
	s_delay_alu instid0(VALU_DEP_3) | instskip(SKIP_1) | instid1(VALU_DEP_2)
	v_mad_co_u64_u32 v[4:5], null, s7, v11, v[1:2]
	v_mad_co_u64_u32 v[11:12], null, s4, v9, 0
	;; [unrolled: 1-line block ×3, first 2 shown]
	s_delay_alu instid0(VALU_DEP_2)
	v_dual_mov_b32 v1, v4 :: v_dual_mov_b32 v10, v12
	v_mad_co_u64_u32 v[14:15], null, s4, v7, 0
	ds_load_2addr_b32 v[4:5], v19 offset1:56
	v_lshlrev_b64_e32 v[0:1], 2, v[0:1]
	v_dual_mov_b32 v3, v13 :: v_dual_mov_b32 v12, v15
	s_wait_alu 0xfffe
	s_delay_alu instid0(VALU_DEP_2) | instskip(NEXT) | instid1(VALU_DEP_2)
	v_add_co_u32 v20, vcc_lo, s0, v0
	v_lshlrev_b64_e32 v[2:3], 2, v[2:3]
	s_wait_alu 0xfffd
	v_add_co_ci_u32_e32 v21, vcc_lo, s1, v1, vcc_lo
	v_mad_co_u64_u32 v[0:1], null, s5, v9, v[10:11]
	v_mov_b32_e32 v13, v17
	s_delay_alu instid0(VALU_DEP_4)
	v_add_co_u32 v1, vcc_lo, v20, v2
	v_mad_co_u64_u32 v[9:10], null, s4, v6, 0
	s_wait_alu 0xfffd
	v_add_co_ci_u32_e32 v2, vcc_lo, v21, v3, vcc_lo
	v_mad_co_u64_u32 v[17:18], null, s5, v7, v[12:13]
	v_mov_b32_e32 v12, v0
	s_wait_dscnt 0x0
	global_store_b32 v[1:2], v4, off
	v_mov_b32_e32 v0, v10
	v_mad_co_u64_u32 v[7:8], null, s5, v8, v[13:14]
	v_lshlrev_b64_e32 v[1:2], 2, v[11:12]
	v_mov_b32_e32 v15, v17
	ds_load_2addr_b32 v[11:12], v19 offset0:112 offset1:168
	v_mad_co_u64_u32 v[3:4], null, s5, v6, v[0:1]
	v_mov_b32_e32 v17, v7
	v_lshlrev_b64_e32 v[6:7], 2, v[14:15]
	ds_load_b32 v4, v19 offset:896
	v_add_co_u32 v0, vcc_lo, v20, v1
	s_wait_alu 0xfffd
	v_add_co_ci_u32_e32 v1, vcc_lo, v21, v2, vcc_lo
	v_mov_b32_e32 v10, v3
	v_lshlrev_b64_e32 v[13:14], 2, v[16:17]
	v_add_co_u32 v2, vcc_lo, v20, v6
	s_wait_alu 0xfffd
	v_add_co_ci_u32_e32 v3, vcc_lo, v21, v7, vcc_lo
	v_lshlrev_b64_e32 v[6:7], 2, v[9:10]
	s_delay_alu instid0(VALU_DEP_4) | instskip(SKIP_2) | instid1(VALU_DEP_3)
	v_add_co_u32 v8, vcc_lo, v20, v13
	s_wait_alu 0xfffd
	v_add_co_ci_u32_e32 v9, vcc_lo, v21, v14, vcc_lo
	v_add_co_u32 v6, vcc_lo, v20, v6
	s_wait_alu 0xfffd
	v_add_co_ci_u32_e32 v7, vcc_lo, v21, v7, vcc_lo
	global_store_b32 v[0:1], v5, off
	s_wait_dscnt 0x1
	s_clause 0x1
	global_store_b32 v[2:3], v11, off
	global_store_b32 v[8:9], v12, off
	s_wait_dscnt 0x0
	global_store_b32 v[6:7], v4, off
.LBB0_22:
	s_nop 0
	s_sendmsg sendmsg(MSG_DEALLOC_VGPRS)
	s_endpgm
	.section	.rodata,"a",@progbits
	.p2align	6, 0x0
	.amdhsa_kernel fft_rtc_back_len280_factors_8_5_7_wgs_392_tpt_56_half_ip_CI_sbcc_twdbase8_3step
		.amdhsa_group_segment_fixed_size 0
		.amdhsa_private_segment_fixed_size 0
		.amdhsa_kernarg_size 96
		.amdhsa_user_sgpr_count 2
		.amdhsa_user_sgpr_dispatch_ptr 0
		.amdhsa_user_sgpr_queue_ptr 0
		.amdhsa_user_sgpr_kernarg_segment_ptr 1
		.amdhsa_user_sgpr_dispatch_id 0
		.amdhsa_user_sgpr_private_segment_size 0
		.amdhsa_wavefront_size32 1
		.amdhsa_uses_dynamic_stack 0
		.amdhsa_enable_private_segment 0
		.amdhsa_system_sgpr_workgroup_id_x 1
		.amdhsa_system_sgpr_workgroup_id_y 0
		.amdhsa_system_sgpr_workgroup_id_z 0
		.amdhsa_system_sgpr_workgroup_info 0
		.amdhsa_system_vgpr_workitem_id 0
		.amdhsa_next_free_vgpr 79
		.amdhsa_next_free_sgpr 51
		.amdhsa_reserve_vcc 1
		.amdhsa_float_round_mode_32 0
		.amdhsa_float_round_mode_16_64 0
		.amdhsa_float_denorm_mode_32 3
		.amdhsa_float_denorm_mode_16_64 3
		.amdhsa_fp16_overflow 0
		.amdhsa_workgroup_processor_mode 1
		.amdhsa_memory_ordered 1
		.amdhsa_forward_progress 0
		.amdhsa_round_robin_scheduling 0
		.amdhsa_exception_fp_ieee_invalid_op 0
		.amdhsa_exception_fp_denorm_src 0
		.amdhsa_exception_fp_ieee_div_zero 0
		.amdhsa_exception_fp_ieee_overflow 0
		.amdhsa_exception_fp_ieee_underflow 0
		.amdhsa_exception_fp_ieee_inexact 0
		.amdhsa_exception_int_div_zero 0
	.end_amdhsa_kernel
	.text
.Lfunc_end0:
	.size	fft_rtc_back_len280_factors_8_5_7_wgs_392_tpt_56_half_ip_CI_sbcc_twdbase8_3step, .Lfunc_end0-fft_rtc_back_len280_factors_8_5_7_wgs_392_tpt_56_half_ip_CI_sbcc_twdbase8_3step
                                        ; -- End function
	.section	.AMDGPU.csdata,"",@progbits
; Kernel info:
; codeLenInByte = 6392
; NumSgprs: 53
; NumVgprs: 79
; ScratchSize: 0
; MemoryBound: 0
; FloatMode: 240
; IeeeMode: 1
; LDSByteSize: 0 bytes/workgroup (compile time only)
; SGPRBlocks: 6
; VGPRBlocks: 9
; NumSGPRsForWavesPerEU: 53
; NumVGPRsForWavesPerEU: 79
; Occupancy: 13
; WaveLimiterHint : 1
; COMPUTE_PGM_RSRC2:SCRATCH_EN: 0
; COMPUTE_PGM_RSRC2:USER_SGPR: 2
; COMPUTE_PGM_RSRC2:TRAP_HANDLER: 0
; COMPUTE_PGM_RSRC2:TGID_X_EN: 1
; COMPUTE_PGM_RSRC2:TGID_Y_EN: 0
; COMPUTE_PGM_RSRC2:TGID_Z_EN: 0
; COMPUTE_PGM_RSRC2:TIDIG_COMP_CNT: 0
	.text
	.p2alignl 7, 3214868480
	.fill 96, 4, 3214868480
	.type	__hip_cuid_3f0302486767b972,@object ; @__hip_cuid_3f0302486767b972
	.section	.bss,"aw",@nobits
	.globl	__hip_cuid_3f0302486767b972
__hip_cuid_3f0302486767b972:
	.byte	0                               ; 0x0
	.size	__hip_cuid_3f0302486767b972, 1

	.ident	"AMD clang version 19.0.0git (https://github.com/RadeonOpenCompute/llvm-project roc-6.4.0 25133 c7fe45cf4b819c5991fe208aaa96edf142730f1d)"
	.section	".note.GNU-stack","",@progbits
	.addrsig
	.addrsig_sym __hip_cuid_3f0302486767b972
	.amdgpu_metadata
---
amdhsa.kernels:
  - .args:
      - .actual_access:  read_only
        .address_space:  global
        .offset:         0
        .size:           8
        .value_kind:     global_buffer
      - .address_space:  global
        .offset:         8
        .size:           8
        .value_kind:     global_buffer
      - .offset:         16
        .size:           8
        .value_kind:     by_value
      - .actual_access:  read_only
        .address_space:  global
        .offset:         24
        .size:           8
        .value_kind:     global_buffer
      - .actual_access:  read_only
        .address_space:  global
        .offset:         32
        .size:           8
        .value_kind:     global_buffer
      - .offset:         40
        .size:           8
        .value_kind:     by_value
      - .actual_access:  read_only
        .address_space:  global
        .offset:         48
        .size:           8
        .value_kind:     global_buffer
      - .actual_access:  read_only
        .address_space:  global
        .offset:         56
        .size:           8
        .value_kind:     global_buffer
      - .offset:         64
        .size:           4
        .value_kind:     by_value
      - .actual_access:  read_only
        .address_space:  global
        .offset:         72
        .size:           8
        .value_kind:     global_buffer
      - .actual_access:  read_only
        .address_space:  global
        .offset:         80
        .size:           8
        .value_kind:     global_buffer
      - .address_space:  global
        .offset:         88
        .size:           8
        .value_kind:     global_buffer
    .group_segment_fixed_size: 0
    .kernarg_segment_align: 8
    .kernarg_segment_size: 96
    .language:       OpenCL C
    .language_version:
      - 2
      - 0
    .max_flat_workgroup_size: 392
    .name:           fft_rtc_back_len280_factors_8_5_7_wgs_392_tpt_56_half_ip_CI_sbcc_twdbase8_3step
    .private_segment_fixed_size: 0
    .sgpr_count:     53
    .sgpr_spill_count: 0
    .symbol:         fft_rtc_back_len280_factors_8_5_7_wgs_392_tpt_56_half_ip_CI_sbcc_twdbase8_3step.kd
    .uniform_work_group_size: 1
    .uses_dynamic_stack: false
    .vgpr_count:     79
    .vgpr_spill_count: 0
    .wavefront_size: 32
    .workgroup_processor_mode: 1
amdhsa.target:   amdgcn-amd-amdhsa--gfx1201
amdhsa.version:
  - 1
  - 2
...

	.end_amdgpu_metadata
